;; amdgpu-corpus repo=llvm/llvm-project kind=harvested arch=n/a opt=n/a
// NOTE: Assertions have been autogenerated by utils/update_mc_test_checks.py UTC_ARGS: --version 5
// RUN: llvm-mc -triple=amdgcn -mcpu=gfx1310 -show-encoding %s | FileCheck --check-prefixes=GFX13 %s
// RUN: llvm-mc -triple=amdgcn -mcpu=gfx1310 -show-encoding %s | %extract-encodings | llvm-mc -triple=amdgcn -mcpu=gfx1310 -show-encoding -disassemble | FileCheck --check-prefixes=GFX13 %s

image_atomic_add v0, v0, s[0:7] dmask:0x1 dim:SQ_RSRC_IMG_1D
// GFX13: image_atomic_add_uint v0, v0, s[0:7] dmask:0x1 dim:SQ_RSRC_IMG_1D ; encoding: [0x00,0x40,0x44,0xd0,0x00,0x00,0x00,0x00,0x00,0x00,0x00,0x00]

image_atomic_sub v0, v0, s[0:7] dmask:0x1 dim:SQ_RSRC_IMG_1D
// GFX13: image_atomic_sub_uint v0, v0, s[0:7] dmask:0x1 dim:SQ_RSRC_IMG_1D ; encoding: [0x00,0x80,0x44,0xd0,0x00,0x00,0x00,0x00,0x00,0x00,0x00,0x00]

image_atomic_smin v0, v0, s[0:7] dmask:0x1 dim:SQ_RSRC_IMG_1D
// GFX13: image_atomic_min_int v0, v0, s[0:7] dmask:0x1 dim:SQ_RSRC_IMG_1D ; encoding: [0x00,0x00,0x45,0xd0,0x00,0x00,0x00,0x00,0x00,0x00,0x00,0x00]

image_atomic_umin v0, v0, s[0:7] dmask:0x1 dim:SQ_RSRC_IMG_1D
// GFX13: image_atomic_min_uint v0, v0, s[0:7] dmask:0x1 dim:SQ_RSRC_IMG_1D ; encoding: [0x00,0x40,0x45,0xd0,0x00,0x00,0x00,0x00,0x00,0x00,0x00,0x00]

image_atomic_smax v0, v0, s[0:7] dmask:0x1 dim:SQ_RSRC_IMG_1D
// GFX13: image_atomic_max_int v0, v0, s[0:7] dmask:0x1 dim:SQ_RSRC_IMG_1D ; encoding: [0x00,0x80,0x45,0xd0,0x00,0x00,0x00,0x00,0x00,0x00,0x00,0x00]

image_atomic_umax v0, v0, s[0:7] dmask:0x1 dim:SQ_RSRC_IMG_1D
// GFX13: image_atomic_max_uint v0, v0, s[0:7] dmask:0x1 dim:SQ_RSRC_IMG_1D ; encoding: [0x00,0xc0,0x45,0xd0,0x00,0x00,0x00,0x00,0x00,0x00,0x00,0x00]

image_atomic_inc v0, v0, s[0:7] dmask:0x1 dim:SQ_RSRC_IMG_1D
// GFX13: image_atomic_inc_uint v0, v0, s[0:7] dmask:0x1 dim:SQ_RSRC_IMG_1D ; encoding: [0x00,0xc0,0x46,0xd0,0x00,0x00,0x00,0x00,0x00,0x00,0x00,0x00]

image_atomic_dec v0, v0, s[0:7] dmask:0x1 dim:SQ_RSRC_IMG_1D
// GFX13: image_atomic_dec_uint v0, v0, s[0:7] dmask:0x1 dim:SQ_RSRC_IMG_1D ; encoding: [0x00,0x00,0x47,0xd0,0x00,0x00,0x00,0x00,0x00,0x00,0x00,0x00]
